;; amdgpu-corpus repo=zjin-lcf/HeCBench kind=compiled arch=gfx1030 opt=O3
	.amdgcn_target "amdgcn-amd-amdhsa--gfx1030"
	.amdhsa_code_object_version 6
	.text
	.protected	_Z10insertionsPdPK13StructureAtomid ; -- Begin function _Z10insertionsPdPK13StructureAtomid
	.globl	_Z10insertionsPdPK13StructureAtomid
	.p2align	8
	.type	_Z10insertionsPdPK13StructureAtomid,@function
_Z10insertionsPdPK13StructureAtomid:    ; @_Z10insertionsPdPK13StructureAtomid
; %bb.0:
	s_clause 0x1
	s_load_dword s33, s[4:5], 0x10
	s_load_dwordx2 s[8:9], s[4:5], 0x0
	v_lshl_add_u32 v0, s6, 8, v0
	v_ashrrev_i32_e32 v1, 31, v0
	s_waitcnt lgkmcnt(0)
	s_cmp_lt_i32 s33, 1
	s_cbranch_scc1 .LBB0_3
; %bb.1:
	v_mad_u64_u32 v[2:3], null, 0xe48e2825, v0, 1
	v_mul_lo_u32 v4, 0x26f19d38, v0
	v_mul_lo_u32 v5, 0xe48e2825, v1
	s_mov_b32 s0, 0xe48e2826
	s_mov_b32 s1, 0x26f19d38
	;; [unrolled: 1-line block ×7, first 2 shown]
	v_add3_u32 v6, v5, v3, v4
	v_mul_lo_u32 v5, 0x26f19d38, v2
	v_mad_u64_u32 v[3:4], null, 0xe48e2825, v2, 0
	s_mov_b32 s22, 0xcfa74449
	v_mul_lo_u32 v7, 0xe48e2825, v6
	v_and_b32_e32 v6, 0x7fffffff, v6
	s_mov_b32 s24, 0x71bf3c30
	s_mov_b32 s26, 0x1c7792ce
	;; [unrolled: 1-line block ×3, first 2 shown]
	v_mul_lo_u32 v8, 0x26f19d38, v3
	v_add_co_u32 v13, vcc_lo, v3, 1
	v_add3_u32 v7, v4, v5, v7
	v_mad_u64_u32 v[4:5], null, 0xe48e2825, v3, s[0:1]
	v_cvt_f64_u32_e32 v[13:14], v13
	s_clause 0x1
	s_load_dwordx2 s[0:1], s[4:5], 0x8
	s_load_dwordx2 s[10:11], s[4:5], 0x18
	v_mul_lo_u32 v9, 0xe48e2825, v7
	v_add_co_ci_u32_e64 v3, null, 0, v7, vcc_lo
	s_mov_b32 s30, 0x9999999c
	v_cvt_f64_u32_e32 v[11:12], v4
	s_mov_b32 s34, 0xfefa39ef
	v_and_b32_e32 v3, 0x7fffffff, v3
	s_mov_b32 s36, 0x3b39803f
	v_add3_u32 v5, v9, v5, v8
	s_mov_b32 s40, 0xd5df274d
	s_mov_b32 s42, 0x652b82fe
	v_cvt_f64_u32_e32 v[7:8], v3
	v_cvt_f64_u32_e32 v[2:3], v2
	v_and_b32_e32 v9, 0x7fffffff, v5
	v_cvt_f64_u32_e32 v[5:6], v6
	s_mov_b32 s50, 0xfca7ab0c
	s_mov_b32 s52, 0x6a5dcb37
	;; [unrolled: 1-line block ×3, first 2 shown]
	v_cvt_f64_u32_e32 v[9:10], v9
	s_waitcnt lgkmcnt(0)
	s_add_u32 s48, s0, 16
	s_mov_b32 s56, 0x7c89e6b0
	s_mov_b32 s58, 0x14761f6e
	;; [unrolled: 1-line block ×16, first 2 shown]
	v_ldexp_f64 v[4:5], v[5:6], 32
	v_ldexp_f64 v[6:7], v[7:8], 32
	s_mov_b32 s29, 0x3fd24924
	s_mov_b32 s31, 0x3fd99999
	v_ldexp_f64 v[8:9], v[9:10], 32
	s_mov_b32 s35, 0x3fe62e42
	s_mov_b32 s37, 0x3c7abc9e
	;; [unrolled: 1-line block ×9, first 2 shown]
	s_addc_u32 s49, s1, 0
	s_mov_b32 s46, s36
	s_mov_b32 s51, 0x3e928af3
	;; [unrolled: 1-line block ×7, first 2 shown]
	v_add_f64 v[4:5], v[4:5], v[2:3]
	v_add_f64 v[6:7], v[6:7], v[13:14]
	v_mov_b32_e32 v2, 0
	v_mov_b32_e32 v3, 0
	v_add_f64 v[8:9], v[8:9], v[11:12]
	s_mov_b32 s63, 0x3f811111
	s_mov_b32 s65, 0x3fa55555
	;; [unrolled: 1-line block ×4, first 2 shown]
	v_ldexp_f64 v[10:11], v[4:5], 0xffffffc1
	v_ldexp_f64 v[12:13], v[6:7], 0xffffffc1
	v_mul_f64 v[4:5], s[10:11], 0.5
	v_ldexp_f64 v[14:15], v[8:9], 0xffffffc1
	v_mul_f64 v[6:7], s[10:11], v[10:11]
	v_mul_f64 v[8:9], s[10:11], v[12:13]
	;; [unrolled: 1-line block ×3, first 2 shown]
.LBB0_2:                                ; =>This Inner Loop Header: Depth=1
	s_add_u32 s0, s48, -16
	s_addc_u32 s1, s49, -1
	s_add_i32 s70, s70, 1
	s_load_dwordx8 s[0:7], s[0:1], 0x0
	s_waitcnt lgkmcnt(0)
	v_add_f64 v[12:13], v[8:9], -s[2:3]
	v_add_f64 v[14:15], v[6:7], -s[0:1]
	;; [unrolled: 1-line block ×4, first 2 shown]
	v_cmp_gt_f64_e32 vcc_lo, v[12:13], v[4:5]
	v_add_f64 v[20:21], v[14:15], -s[10:11]
	v_cmp_gt_f64_e64 s0, v[14:15], v[4:5]
	v_add_f64 v[22:23], v[16:17], -s[10:11]
	v_cmp_nle_f64_e64 s1, v[16:17], -v[4:5]
	v_cndmask_b32_e32 v13, v13, v19, vcc_lo
	v_cndmask_b32_e32 v12, v12, v18, vcc_lo
	v_cndmask_b32_e64 v15, v15, v21, s0
	v_cndmask_b32_e64 v14, v14, v20, s0
	;; [unrolled: 1-line block ×4, first 2 shown]
	v_add_f64 v[18:19], v[12:13], -s[10:11]
	v_cmp_nle_f64_e64 vcc_lo, v[12:13], -v[4:5]
	v_add_f64 v[20:21], v[14:15], -s[10:11]
	v_cmp_gt_f64_e64 s0, v[14:15], v[4:5]
	v_cndmask_b32_e32 v13, v19, v13, vcc_lo
	v_cndmask_b32_e32 v12, v18, v12, vcc_lo
	v_add_f64 v[18:19], v[16:17], -s[10:11]
	v_cmp_nle_f64_e64 vcc_lo, v[16:17], -v[4:5]
	v_cndmask_b32_e64 v15, v15, v21, s0
	v_cndmask_b32_e64 v14, v14, v20, s0
	v_mul_f64 v[12:13], v[12:13], v[12:13]
	s_load_dwordx2 s[0:1], s[48:49], 0x10
	v_fma_f64 v[12:13], v[14:15], v[14:15], v[12:13]
	v_cndmask_b32_e32 v15, v19, v17, vcc_lo
	v_cndmask_b32_e32 v14, v18, v16, vcc_lo
	v_fma_f64 v[12:13], v[14:15], v[14:15], v[12:13]
	v_cmp_gt_f64_e32 vcc_lo, 0x10000000, v[12:13]
	v_cndmask_b32_e64 v14, 0, 0x100, vcc_lo
	v_ldexp_f64 v[12:13], v[12:13], v14
	v_rsq_f64_e32 v[14:15], v[12:13]
	v_mul_f64 v[16:17], v[12:13], v[14:15]
	v_mul_f64 v[14:15], v[14:15], 0.5
	v_fma_f64 v[18:19], -v[14:15], v[16:17], 0.5
	v_fma_f64 v[16:17], v[16:17], v[18:19], v[16:17]
	v_fma_f64 v[14:15], v[14:15], v[18:19], v[14:15]
	v_fma_f64 v[18:19], -v[16:17], v[16:17], v[12:13]
	v_fma_f64 v[16:17], v[18:19], v[14:15], v[16:17]
	v_fma_f64 v[18:19], -v[16:17], v[16:17], v[12:13]
	v_fma_f64 v[14:15], v[18:19], v[14:15], v[16:17]
	v_cndmask_b32_e64 v16, 0, 0xffffff80, vcc_lo
	v_cmp_class_f64_e64 vcc_lo, v[12:13], 0x260
	v_ldexp_f64 v[14:15], v[14:15], v16
	v_cndmask_b32_e32 v13, v15, v13, vcc_lo
	v_cndmask_b32_e32 v12, v14, v12, vcc_lo
	v_div_scale_f64 v[14:15], null, v[12:13], v[12:13], 1.0
	v_div_scale_f64 v[20:21], vcc_lo, 1.0, v[12:13], 1.0
	v_rcp_f64_e32 v[16:17], v[14:15]
	v_fma_f64 v[18:19], -v[14:15], v[16:17], 1.0
	v_fma_f64 v[16:17], v[16:17], v[18:19], v[16:17]
	v_fma_f64 v[18:19], -v[14:15], v[16:17], 1.0
	v_fma_f64 v[16:17], v[16:17], v[18:19], v[16:17]
	v_mul_f64 v[18:19], v[20:21], v[16:17]
	v_fma_f64 v[14:15], -v[14:15], v[18:19], v[20:21]
	v_div_fmas_f64 v[14:15], v[14:15], v[16:17], v[18:19]
	v_div_fixup_f64 v[12:13], v[14:15], v[12:13], 1.0
	s_waitcnt lgkmcnt(0)
	v_mul_f64 v[12:13], s[0:1], v[12:13]
	v_frexp_mant_f64_e64 v[14:15], |v[12:13]|
	v_cmp_gt_f64_e32 vcc_lo, s[12:13], v[14:15]
	v_cndmask_b32_e64 v16, 0, 1, vcc_lo
	v_ldexp_f64 v[14:15], v[14:15], v16
	v_add_f64 v[16:17], v[14:15], 1.0
	v_add_f64 v[22:23], v[14:15], -1.0
	v_rcp_f64_e32 v[18:19], v[16:17]
	v_add_f64 v[24:25], v[16:17], -1.0
	v_add_f64 v[14:15], v[14:15], -v[24:25]
	v_fma_f64 v[20:21], -v[16:17], v[18:19], 1.0
	v_fma_f64 v[18:19], v[20:21], v[18:19], v[18:19]
	v_fma_f64 v[20:21], -v[16:17], v[18:19], 1.0
	v_fma_f64 v[18:19], v[20:21], v[18:19], v[18:19]
	v_mul_f64 v[20:21], v[22:23], v[18:19]
	v_mul_f64 v[26:27], v[16:17], v[20:21]
	v_fma_f64 v[16:17], v[20:21], v[16:17], -v[26:27]
	v_fma_f64 v[14:15], v[20:21], v[14:15], v[16:17]
	v_add_f64 v[16:17], v[26:27], v[14:15]
	v_add_f64 v[24:25], v[22:23], -v[16:17]
	v_add_f64 v[26:27], v[16:17], -v[26:27]
	;; [unrolled: 1-line block ×5, first 2 shown]
	v_add_f64 v[14:15], v[14:15], v[16:17]
	v_add_f64 v[14:15], v[24:25], v[14:15]
	v_mul_f64 v[14:15], v[18:19], v[14:15]
	v_add_f64 v[16:17], v[20:21], v[14:15]
	v_add_f64 v[18:19], v[16:17], -v[20:21]
	v_mul_f64 v[20:21], v[16:17], v[16:17]
	v_add_f64 v[14:15], v[14:15], -v[18:19]
	v_fma_f64 v[18:19], v[16:17], v[16:17], -v[20:21]
	v_add_f64 v[22:23], v[14:15], v[14:15]
	v_fma_f64 v[18:19], v[16:17], v[22:23], v[18:19]
	v_add_f64 v[22:23], v[20:21], v[18:19]
	v_fma_f64 v[24:25], v[22:23], s[16:17], s[14:15]
	v_add_f64 v[20:21], v[22:23], -v[20:21]
	v_mul_f64 v[28:29], v[16:17], v[22:23]
	v_fma_f64 v[24:25], v[22:23], v[24:25], s[18:19]
	v_add_f64 v[18:19], v[18:19], -v[20:21]
	v_fma_f64 v[32:33], v[22:23], v[16:17], -v[28:29]
	v_fma_f64 v[24:25], v[22:23], v[24:25], s[20:21]
	v_fma_f64 v[24:25], v[22:23], v[24:25], s[22:23]
	v_fma_f64 v[24:25], v[22:23], v[24:25], s[24:25]
	v_fma_f64 v[24:25], v[22:23], v[24:25], s[26:27]
	v_fma_f64 v[24:25], v[22:23], v[24:25], s[28:29]
	v_fma_f64 v[24:25], v[22:23], v[24:25], s[30:31]
	v_mul_f64 v[26:27], v[22:23], v[24:25]
	v_fma_f64 v[20:21], v[22:23], v[24:25], -v[26:27]
	v_fma_f64 v[22:23], v[22:23], v[14:15], v[32:33]
	v_ldexp_f64 v[14:15], v[14:15], 1
	v_fma_f64 v[20:21], v[18:19], v[24:25], v[20:21]
	v_fma_f64 v[18:19], v[18:19], v[16:17], v[22:23]
	v_ldexp_f64 v[16:17], v[16:17], 1
	v_add_f64 v[24:25], v[26:27], v[20:21]
	v_add_f64 v[22:23], v[28:29], v[18:19]
	;; [unrolled: 1-line block ×3, first 2 shown]
	v_add_f64 v[26:27], v[24:25], -v[26:27]
	v_add_f64 v[28:29], v[22:23], -v[28:29]
	v_add_f64 v[34:35], v[30:31], s[38:39]
	v_add_f64 v[20:21], v[20:21], -v[26:27]
	v_add_f64 v[18:19], v[18:19], -v[28:29]
	;; [unrolled: 1-line block ×3, first 2 shown]
	v_add_f64 v[20:21], v[20:21], s[40:41]
	v_add_f64 v[20:21], v[20:21], v[24:25]
	;; [unrolled: 1-line block ×3, first 2 shown]
	v_add_f64 v[26:27], v[30:31], -v[24:25]
	v_mul_f64 v[30:31], v[22:23], v[24:25]
	v_add_f64 v[20:21], v[20:21], v[26:27]
	v_fma_f64 v[26:27], v[22:23], v[24:25], -v[30:31]
	v_fma_f64 v[20:21], v[22:23], v[20:21], v[26:27]
	v_frexp_exp_i32_f64_e32 v22, v[12:13]
	v_fma_f64 v[18:19], v[18:19], v[24:25], v[20:21]
	v_subrev_co_ci_u32_e64 v22, null, 0, v22, vcc_lo
	v_cvt_f64_i32_e32 v[22:23], v22
	v_add_f64 v[20:21], v[30:31], v[18:19]
	v_mul_f64 v[28:29], v[22:23], s[34:35]
	v_add_f64 v[24:25], v[16:17], v[20:21]
	v_add_f64 v[26:27], v[20:21], -v[30:31]
	v_add_f64 v[16:17], v[24:25], -v[16:17]
	;; [unrolled: 1-line block ×3, first 2 shown]
	v_fma_f64 v[26:27], v[22:23], s[34:35], -v[28:29]
	v_add_f64 v[16:17], v[20:21], -v[16:17]
	v_add_f64 v[14:15], v[14:15], v[18:19]
	v_fma_f64 v[18:19], v[22:23], s[36:37], v[26:27]
	v_add_f64 v[14:15], v[14:15], v[16:17]
	v_add_f64 v[16:17], v[28:29], v[18:19]
	;; [unrolled: 1-line block ×3, first 2 shown]
	v_add_f64 v[28:29], v[16:17], -v[28:29]
	v_add_f64 v[22:23], v[16:17], v[20:21]
	v_add_f64 v[24:25], v[20:21], -v[24:25]
	v_add_f64 v[18:19], v[18:19], -v[28:29]
	;; [unrolled: 1-line block ×6, first 2 shown]
	v_add_f64 v[24:25], v[18:19], v[14:15]
	v_add_f64 v[16:17], v[16:17], -v[30:31]
	v_add_f64 v[16:17], v[20:21], v[16:17]
	v_add_f64 v[20:21], v[24:25], -v[18:19]
	;; [unrolled: 2-line block ×3, first 2 shown]
	v_add_f64 v[14:15], v[14:15], -v[20:21]
	v_add_f64 v[26:27], v[22:23], v[16:17]
	v_add_f64 v[18:19], v[18:19], -v[24:25]
	v_add_f64 v[20:21], v[26:27], -v[22:23]
	v_add_f64 v[14:15], v[14:15], v[18:19]
	v_add_f64 v[16:17], v[16:17], -v[20:21]
	v_add_f64 v[14:15], v[14:15], v[16:17]
	v_add_f64 v[16:17], v[26:27], v[14:15]
	v_add_f64 v[18:19], v[16:17], -v[26:27]
	v_mul_f64 v[20:21], 0x40180000, v[16:17]
	v_add_f64 v[14:15], v[14:15], -v[18:19]
	v_fma_f64 v[16:17], 0x40180000, v[16:17], -v[20:21]
	v_cmp_class_f64_e64 vcc_lo, v[20:21], 0x204
	v_fma_f64 v[14:15], 0x40180000, v[14:15], v[16:17]
	v_add_f64 v[16:17], v[20:21], v[14:15]
	v_cndmask_b32_e32 v19, v17, v21, vcc_lo
	v_cndmask_b32_e32 v18, v16, v20, vcc_lo
	v_add_f64 v[16:17], v[16:17], -v[20:21]
	v_mul_f64 v[22:23], v[18:19], s[42:43]
	v_cmp_nlt_f64_e64 s0, 0x40900000, v[18:19]
	v_cmp_neq_f64_e64 vcc_lo, 0x7ff00000, |v[18:19]|
	v_cmp_ngt_f64_e64 s1, 0xc090cc00, v[18:19]
	v_add_f64 v[14:15], v[14:15], -v[16:17]
	v_rndne_f64_e32 v[22:23], v[22:23]
	v_cndmask_b32_e32 v15, 0, v15, vcc_lo
	v_cndmask_b32_e32 v14, 0, v14, vcc_lo
	s_and_b32 vcc_lo, s1, s0
	v_fma_f64 v[24:25], v[22:23], s[44:45], v[18:19]
	v_cvt_i32_f64_e32 v28, v[22:23]
	v_fma_f64 v[24:25], v[22:23], s[46:47], v[24:25]
	v_fma_f64 v[26:27], v[24:25], s[52:53], s[50:51]
	;; [unrolled: 1-line block ×10, first 2 shown]
	v_fma_f64 v[26:27], v[24:25], v[26:27], 1.0
	v_fma_f64 v[22:23], v[24:25], v[26:27], 1.0
	v_ldexp_f64 v[20:21], v[22:23], v28
	v_cndmask_b32_e64 v16, 0x7ff00000, v21, s0
	v_cmp_neq_f64_e64 s0, 0x7ff00000, |v[12:13]|
	v_cndmask_b32_e64 v17, 0, v16, s1
	v_cndmask_b32_e32 v16, 0, v20, vcc_lo
	v_cmp_neq_f64_e64 s1, 0, v[12:13]
	v_fma_f64 v[14:15], v[16:17], v[14:15], v[16:17]
	v_cmp_class_f64_e64 vcc_lo, v[16:17], 0x204
	v_cndmask_b32_e32 v15, v15, v17, vcc_lo
	v_cndmask_b32_e32 v12, v14, v16, vcc_lo
	s_and_b32 vcc_lo, s1, s0
	s_add_u32 s48, s48, 40
	s_addc_u32 s49, s49, 0
	v_and_b32_e32 v15, 0x7fffffff, v15
	v_cndmask_b32_e32 v12, 0, v12, vcc_lo
	s_cmp_gt_i32 s33, s70
	v_cndmask_b32_e64 v15, 0x7ff00000, v15, s0
	v_cndmask_b32_e64 v13, 0, v15, s1
	v_mul_f64 v[14:15], s[6:7], 4.0
	v_fma_f64 v[12:13], v[12:13], v[12:13], -v[12:13]
	v_fma_f64 v[2:3], v[14:15], v[12:13], v[2:3]
	s_cbranch_scc1 .LBB0_2
	s_branch .LBB0_4
.LBB0_3:
	v_mov_b32_e32 v2, 0
	v_mov_b32_e32 v3, 0
.LBB0_4:
	s_mov_b32 s0, 0xdd2f1aa0
	s_mov_b32 s1, 0xc0a35b24
	;; [unrolled: 1-line block ×3, first 2 shown]
	v_div_scale_f64 v[4:5], null, s[0:1], s[0:1], v[2:3]
	v_div_scale_f64 v[10:11], vcc_lo, v[2:3], s[0:1], v[2:3]
	s_mov_b32 s3, 0x3e5ade15
	v_lshlrev_b64 v[0:1], 3, v[0:1]
	v_rcp_f64_e32 v[6:7], v[4:5]
	v_fma_f64 v[8:9], -v[4:5], v[6:7], 1.0
	v_fma_f64 v[6:7], v[6:7], v[8:9], v[6:7]
	v_fma_f64 v[8:9], -v[4:5], v[6:7], 1.0
	v_fma_f64 v[6:7], v[6:7], v[8:9], v[6:7]
	v_mul_f64 v[8:9], v[10:11], v[6:7]
	v_fma_f64 v[4:5], -v[4:5], v[8:9], v[10:11]
	v_div_fmas_f64 v[4:5], v[4:5], v[6:7], v[8:9]
	v_div_fixup_f64 v[2:3], v[4:5], s[0:1], v[2:3]
	s_mov_b32 s0, 0x652b82fe
	s_mov_b32 s1, 0x3ff71547
	v_mul_f64 v[4:5], v[2:3], s[0:1]
	s_mov_b32 s0, 0xfefa39ef
	s_mov_b32 s1, 0xbfe62e42
	v_cmp_nlt_f64_e32 vcc_lo, 0x40900000, v[2:3]
	v_rndne_f64_e32 v[4:5], v[4:5]
	v_fma_f64 v[6:7], v[4:5], s[0:1], v[2:3]
	s_mov_b32 s0, 0x3b39803f
	s_mov_b32 s1, 0xbc7abc9e
	v_cvt_i32_f64_e32 v10, v[4:5]
	v_fma_f64 v[6:7], v[4:5], s[0:1], v[6:7]
	s_mov_b32 s0, 0xfca7ab0c
	s_mov_b32 s1, 0x3e928af3
	v_fma_f64 v[8:9], v[6:7], s[2:3], s[0:1]
	s_mov_b32 s0, 0x623fde64
	s_mov_b32 s1, 0x3ec71dee
	;; [unrolled: 3-line block ×9, first 2 shown]
	v_fma_f64 v[8:9], v[6:7], v[8:9], s[0:1]
	v_cmp_ngt_f64_e64 s0, 0xc090cc00, v[2:3]
	v_fma_f64 v[8:9], v[6:7], v[8:9], 1.0
	v_fma_f64 v[4:5], v[6:7], v[8:9], 1.0
	v_ldexp_f64 v[4:5], v[4:5], v10
	v_cndmask_b32_e32 v5, 0x7ff00000, v5, vcc_lo
	s_and_b32 vcc_lo, s0, vcc_lo
	v_cndmask_b32_e32 v2, 0, v4, vcc_lo
	v_add_co_u32 v0, vcc_lo, s8, v0
	v_cndmask_b32_e64 v3, 0, v5, s0
	v_add_co_ci_u32_e64 v1, null, s9, v1, vcc_lo
	global_store_dwordx2 v[0:1], v[2:3], off
	s_endpgm
	.section	.rodata,"a",@progbits
	.p2align	6, 0x0
	.amdhsa_kernel _Z10insertionsPdPK13StructureAtomid
		.amdhsa_group_segment_fixed_size 0
		.amdhsa_private_segment_fixed_size 0
		.amdhsa_kernarg_size 32
		.amdhsa_user_sgpr_count 6
		.amdhsa_user_sgpr_private_segment_buffer 1
		.amdhsa_user_sgpr_dispatch_ptr 0
		.amdhsa_user_sgpr_queue_ptr 0
		.amdhsa_user_sgpr_kernarg_segment_ptr 1
		.amdhsa_user_sgpr_dispatch_id 0
		.amdhsa_user_sgpr_flat_scratch_init 0
		.amdhsa_user_sgpr_private_segment_size 0
		.amdhsa_wavefront_size32 1
		.amdhsa_uses_dynamic_stack 0
		.amdhsa_system_sgpr_private_segment_wavefront_offset 0
		.amdhsa_system_sgpr_workgroup_id_x 1
		.amdhsa_system_sgpr_workgroup_id_y 0
		.amdhsa_system_sgpr_workgroup_id_z 0
		.amdhsa_system_sgpr_workgroup_info 0
		.amdhsa_system_vgpr_workitem_id 0
		.amdhsa_next_free_vgpr 36
		.amdhsa_next_free_sgpr 71
		.amdhsa_reserve_vcc 1
		.amdhsa_reserve_flat_scratch 0
		.amdhsa_float_round_mode_32 0
		.amdhsa_float_round_mode_16_64 0
		.amdhsa_float_denorm_mode_32 3
		.amdhsa_float_denorm_mode_16_64 3
		.amdhsa_dx10_clamp 1
		.amdhsa_ieee_mode 1
		.amdhsa_fp16_overflow 0
		.amdhsa_workgroup_processor_mode 1
		.amdhsa_memory_ordered 1
		.amdhsa_forward_progress 1
		.amdhsa_shared_vgpr_count 0
		.amdhsa_exception_fp_ieee_invalid_op 0
		.amdhsa_exception_fp_denorm_src 0
		.amdhsa_exception_fp_ieee_div_zero 0
		.amdhsa_exception_fp_ieee_overflow 0
		.amdhsa_exception_fp_ieee_underflow 0
		.amdhsa_exception_fp_ieee_inexact 0
		.amdhsa_exception_int_div_zero 0
	.end_amdhsa_kernel
	.text
.Lfunc_end0:
	.size	_Z10insertionsPdPK13StructureAtomid, .Lfunc_end0-_Z10insertionsPdPK13StructureAtomid
                                        ; -- End function
	.set _Z10insertionsPdPK13StructureAtomid.num_vgpr, 36
	.set _Z10insertionsPdPK13StructureAtomid.num_agpr, 0
	.set _Z10insertionsPdPK13StructureAtomid.numbered_sgpr, 71
	.set _Z10insertionsPdPK13StructureAtomid.num_named_barrier, 0
	.set _Z10insertionsPdPK13StructureAtomid.private_seg_size, 0
	.set _Z10insertionsPdPK13StructureAtomid.uses_vcc, 1
	.set _Z10insertionsPdPK13StructureAtomid.uses_flat_scratch, 0
	.set _Z10insertionsPdPK13StructureAtomid.has_dyn_sized_stack, 0
	.set _Z10insertionsPdPK13StructureAtomid.has_recursion, 0
	.set _Z10insertionsPdPK13StructureAtomid.has_indirect_call, 0
	.section	.AMDGPU.csdata,"",@progbits
; Kernel info:
; codeLenInByte = 3116
; TotalNumSgprs: 73
; NumVgprs: 36
; ScratchSize: 0
; MemoryBound: 0
; FloatMode: 240
; IeeeMode: 1
; LDSByteSize: 0 bytes/workgroup (compile time only)
; SGPRBlocks: 0
; VGPRBlocks: 4
; NumSGPRsForWavesPerEU: 73
; NumVGPRsForWavesPerEU: 36
; Occupancy: 16
; WaveLimiterHint : 0
; COMPUTE_PGM_RSRC2:SCRATCH_EN: 0
; COMPUTE_PGM_RSRC2:USER_SGPR: 6
; COMPUTE_PGM_RSRC2:TRAP_HANDLER: 0
; COMPUTE_PGM_RSRC2:TGID_X_EN: 1
; COMPUTE_PGM_RSRC2:TGID_Y_EN: 0
; COMPUTE_PGM_RSRC2:TGID_Z_EN: 0
; COMPUTE_PGM_RSRC2:TIDIG_COMP_CNT: 0
	.text
	.p2alignl 6, 3214868480
	.fill 48, 4, 3214868480
	.section	.AMDGPU.gpr_maximums,"",@progbits
	.set amdgpu.max_num_vgpr, 0
	.set amdgpu.max_num_agpr, 0
	.set amdgpu.max_num_sgpr, 0
	.text
	.type	__hip_cuid_c862a51631c4ebea,@object ; @__hip_cuid_c862a51631c4ebea
	.section	.bss,"aw",@nobits
	.globl	__hip_cuid_c862a51631c4ebea
__hip_cuid_c862a51631c4ebea:
	.byte	0                               ; 0x0
	.size	__hip_cuid_c862a51631c4ebea, 1

	.ident	"AMD clang version 22.0.0git (https://github.com/RadeonOpenCompute/llvm-project roc-7.2.4 26084 f58b06dce1f9c15707c5f808fd002e18c2accf7e)"
	.section	".note.GNU-stack","",@progbits
	.addrsig
	.addrsig_sym __hip_cuid_c862a51631c4ebea
	.amdgpu_metadata
---
amdhsa.kernels:
  - .args:
      - .actual_access:  write_only
        .address_space:  global
        .offset:         0
        .size:           8
        .value_kind:     global_buffer
      - .actual_access:  read_only
        .address_space:  global
        .offset:         8
        .size:           8
        .value_kind:     global_buffer
      - .offset:         16
        .size:           4
        .value_kind:     by_value
      - .offset:         24
        .size:           8
        .value_kind:     by_value
    .group_segment_fixed_size: 0
    .kernarg_segment_align: 8
    .kernarg_segment_size: 32
    .language:       OpenCL C
    .language_version:
      - 2
      - 0
    .max_flat_workgroup_size: 1024
    .name:           _Z10insertionsPdPK13StructureAtomid
    .private_segment_fixed_size: 0
    .sgpr_count:     73
    .sgpr_spill_count: 0
    .symbol:         _Z10insertionsPdPK13StructureAtomid.kd
    .uniform_work_group_size: 1
    .uses_dynamic_stack: false
    .vgpr_count:     36
    .vgpr_spill_count: 0
    .wavefront_size: 32
    .workgroup_processor_mode: 1
amdhsa.target:   amdgcn-amd-amdhsa--gfx1030
amdhsa.version:
  - 1
  - 2
...

	.end_amdgpu_metadata
